;; amdgpu-corpus repo=ROCm/rocFFT kind=compiled arch=gfx906 opt=O3
	.text
	.amdgcn_target "amdgcn-amd-amdhsa--gfx906"
	.amdhsa_code_object_version 6
	.protected	fft_rtc_back_len210_factors_10_7_3_wgs_60_tpt_30_half_ip_CI_sbrr_dirReg ; -- Begin function fft_rtc_back_len210_factors_10_7_3_wgs_60_tpt_30_half_ip_CI_sbrr_dirReg
	.globl	fft_rtc_back_len210_factors_10_7_3_wgs_60_tpt_30_half_ip_CI_sbrr_dirReg
	.p2align	8
	.type	fft_rtc_back_len210_factors_10_7_3_wgs_60_tpt_30_half_ip_CI_sbrr_dirReg,@function
fft_rtc_back_len210_factors_10_7_3_wgs_60_tpt_30_half_ip_CI_sbrr_dirReg: ; @fft_rtc_back_len210_factors_10_7_3_wgs_60_tpt_30_half_ip_CI_sbrr_dirReg
; %bb.0:
	s_load_dwordx2 s[2:3], s[4:5], 0x18
	s_load_dwordx4 s[8:11], s[4:5], 0x0
	s_load_dwordx2 s[14:15], s[4:5], 0x50
	v_mul_u32_u24_e32 v1, 0x889, v0
	v_lshrrev_b32_e32 v9, 16, v1
	s_waitcnt lgkmcnt(0)
	s_load_dwordx2 s[12:13], s[2:3], 0x0
	v_cmp_lt_u64_e64 s[0:1], s[10:11], 2
	v_mov_b32_e32 v3, 0
	v_mov_b32_e32 v1, 0
	v_lshl_add_u32 v5, s6, 1, v9
	v_mov_b32_e32 v6, v3
	s_and_b64 vcc, exec, s[0:1]
	v_mov_b32_e32 v2, 0
	s_cbranch_vccnz .LBB0_8
; %bb.1:
	s_load_dwordx2 s[0:1], s[4:5], 0x10
	s_add_u32 s6, s2, 8
	s_addc_u32 s7, s3, 0
	v_mov_b32_e32 v1, 0
	v_mov_b32_e32 v2, 0
	s_waitcnt lgkmcnt(0)
	s_add_u32 s16, s0, 8
	s_addc_u32 s17, s1, 0
	s_mov_b64 s[18:19], 1
.LBB0_2:                                ; =>This Inner Loop Header: Depth=1
	s_load_dwordx2 s[20:21], s[16:17], 0x0
                                        ; implicit-def: $vgpr7_vgpr8
	s_waitcnt lgkmcnt(0)
	v_or_b32_e32 v4, s21, v6
	v_cmp_ne_u64_e32 vcc, 0, v[3:4]
	s_and_saveexec_b64 s[0:1], vcc
	s_xor_b64 s[22:23], exec, s[0:1]
	s_cbranch_execz .LBB0_4
; %bb.3:                                ;   in Loop: Header=BB0_2 Depth=1
	v_cvt_f32_u32_e32 v4, s20
	v_cvt_f32_u32_e32 v7, s21
	s_sub_u32 s0, 0, s20
	s_subb_u32 s1, 0, s21
	v_mac_f32_e32 v4, 0x4f800000, v7
	v_rcp_f32_e32 v4, v4
	v_mul_f32_e32 v4, 0x5f7ffffc, v4
	v_mul_f32_e32 v7, 0x2f800000, v4
	v_trunc_f32_e32 v7, v7
	v_mac_f32_e32 v4, 0xcf800000, v7
	v_cvt_u32_f32_e32 v7, v7
	v_cvt_u32_f32_e32 v4, v4
	v_mul_lo_u32 v8, s0, v7
	v_mul_hi_u32 v10, s0, v4
	v_mul_lo_u32 v12, s1, v4
	v_mul_lo_u32 v11, s0, v4
	v_add_u32_e32 v8, v10, v8
	v_add_u32_e32 v8, v8, v12
	v_mul_hi_u32 v10, v4, v11
	v_mul_lo_u32 v12, v4, v8
	v_mul_hi_u32 v14, v4, v8
	v_mul_hi_u32 v13, v7, v11
	v_mul_lo_u32 v11, v7, v11
	v_mul_hi_u32 v15, v7, v8
	v_add_co_u32_e32 v10, vcc, v10, v12
	v_addc_co_u32_e32 v12, vcc, 0, v14, vcc
	v_mul_lo_u32 v8, v7, v8
	v_add_co_u32_e32 v10, vcc, v10, v11
	v_addc_co_u32_e32 v10, vcc, v12, v13, vcc
	v_addc_co_u32_e32 v11, vcc, 0, v15, vcc
	v_add_co_u32_e32 v8, vcc, v10, v8
	v_addc_co_u32_e32 v10, vcc, 0, v11, vcc
	v_add_co_u32_e32 v4, vcc, v4, v8
	v_addc_co_u32_e32 v7, vcc, v7, v10, vcc
	v_mul_lo_u32 v8, s0, v7
	v_mul_hi_u32 v10, s0, v4
	v_mul_lo_u32 v11, s1, v4
	v_mul_lo_u32 v12, s0, v4
	v_add_u32_e32 v8, v10, v8
	v_add_u32_e32 v8, v8, v11
	v_mul_lo_u32 v13, v4, v8
	v_mul_hi_u32 v14, v4, v12
	v_mul_hi_u32 v15, v4, v8
	v_mul_hi_u32 v11, v7, v12
	v_mul_lo_u32 v12, v7, v12
	v_mul_hi_u32 v10, v7, v8
	v_add_co_u32_e32 v13, vcc, v14, v13
	v_addc_co_u32_e32 v14, vcc, 0, v15, vcc
	v_mul_lo_u32 v8, v7, v8
	v_add_co_u32_e32 v12, vcc, v13, v12
	v_addc_co_u32_e32 v11, vcc, v14, v11, vcc
	v_addc_co_u32_e32 v10, vcc, 0, v10, vcc
	v_add_co_u32_e32 v8, vcc, v11, v8
	v_addc_co_u32_e32 v10, vcc, 0, v10, vcc
	v_add_co_u32_e32 v4, vcc, v4, v8
	v_addc_co_u32_e32 v10, vcc, v7, v10, vcc
	v_mad_u64_u32 v[7:8], s[0:1], v5, v10, 0
	v_mul_hi_u32 v11, v5, v4
	v_add_co_u32_e32 v12, vcc, v11, v7
	v_addc_co_u32_e32 v13, vcc, 0, v8, vcc
	v_mad_u64_u32 v[7:8], s[0:1], v6, v4, 0
	v_mad_u64_u32 v[10:11], s[0:1], v6, v10, 0
	v_add_co_u32_e32 v4, vcc, v12, v7
	v_addc_co_u32_e32 v4, vcc, v13, v8, vcc
	v_addc_co_u32_e32 v7, vcc, 0, v11, vcc
	v_add_co_u32_e32 v4, vcc, v4, v10
	v_addc_co_u32_e32 v10, vcc, 0, v7, vcc
	v_mul_lo_u32 v11, s21, v4
	v_mul_lo_u32 v12, s20, v10
	v_mad_u64_u32 v[7:8], s[0:1], s20, v4, 0
	v_add3_u32 v8, v8, v12, v11
	v_sub_u32_e32 v11, v6, v8
	v_mov_b32_e32 v12, s21
	v_sub_co_u32_e32 v7, vcc, v5, v7
	v_subb_co_u32_e64 v11, s[0:1], v11, v12, vcc
	v_subrev_co_u32_e64 v12, s[0:1], s20, v7
	v_subbrev_co_u32_e64 v11, s[0:1], 0, v11, s[0:1]
	v_cmp_le_u32_e64 s[0:1], s21, v11
	v_cndmask_b32_e64 v13, 0, -1, s[0:1]
	v_cmp_le_u32_e64 s[0:1], s20, v12
	v_cndmask_b32_e64 v12, 0, -1, s[0:1]
	v_cmp_eq_u32_e64 s[0:1], s21, v11
	v_cndmask_b32_e64 v11, v13, v12, s[0:1]
	v_add_co_u32_e64 v12, s[0:1], 2, v4
	v_addc_co_u32_e64 v13, s[0:1], 0, v10, s[0:1]
	v_add_co_u32_e64 v14, s[0:1], 1, v4
	v_addc_co_u32_e64 v15, s[0:1], 0, v10, s[0:1]
	v_subb_co_u32_e32 v8, vcc, v6, v8, vcc
	v_cmp_ne_u32_e64 s[0:1], 0, v11
	v_cmp_le_u32_e32 vcc, s21, v8
	v_cndmask_b32_e64 v11, v15, v13, s[0:1]
	v_cndmask_b32_e64 v13, 0, -1, vcc
	v_cmp_le_u32_e32 vcc, s20, v7
	v_cndmask_b32_e64 v7, 0, -1, vcc
	v_cmp_eq_u32_e32 vcc, s21, v8
	v_cndmask_b32_e32 v7, v13, v7, vcc
	v_cmp_ne_u32_e32 vcc, 0, v7
	v_cndmask_b32_e64 v7, v14, v12, s[0:1]
	v_cndmask_b32_e32 v8, v10, v11, vcc
	v_cndmask_b32_e32 v7, v4, v7, vcc
.LBB0_4:                                ;   in Loop: Header=BB0_2 Depth=1
	s_andn2_saveexec_b64 s[0:1], s[22:23]
	s_cbranch_execz .LBB0_6
; %bb.5:                                ;   in Loop: Header=BB0_2 Depth=1
	v_cvt_f32_u32_e32 v4, s20
	s_sub_i32 s22, 0, s20
	v_rcp_iflag_f32_e32 v4, v4
	v_mul_f32_e32 v4, 0x4f7ffffe, v4
	v_cvt_u32_f32_e32 v4, v4
	v_mul_lo_u32 v7, s22, v4
	v_mul_hi_u32 v7, v4, v7
	v_add_u32_e32 v4, v4, v7
	v_mul_hi_u32 v4, v5, v4
	v_mul_lo_u32 v7, v4, s20
	v_add_u32_e32 v8, 1, v4
	v_sub_u32_e32 v7, v5, v7
	v_subrev_u32_e32 v10, s20, v7
	v_cmp_le_u32_e32 vcc, s20, v7
	v_cndmask_b32_e32 v7, v7, v10, vcc
	v_cndmask_b32_e32 v4, v4, v8, vcc
	v_add_u32_e32 v8, 1, v4
	v_cmp_le_u32_e32 vcc, s20, v7
	v_cndmask_b32_e32 v7, v4, v8, vcc
	v_mov_b32_e32 v8, v3
.LBB0_6:                                ;   in Loop: Header=BB0_2 Depth=1
	s_or_b64 exec, exec, s[0:1]
	v_mul_lo_u32 v4, v8, s20
	v_mul_lo_u32 v12, v7, s21
	v_mad_u64_u32 v[10:11], s[0:1], v7, s20, 0
	s_load_dwordx2 s[0:1], s[6:7], 0x0
	s_add_u32 s18, s18, 1
	v_add3_u32 v4, v11, v12, v4
	v_sub_co_u32_e32 v5, vcc, v5, v10
	v_subb_co_u32_e32 v4, vcc, v6, v4, vcc
	s_waitcnt lgkmcnt(0)
	v_mul_lo_u32 v4, s0, v4
	v_mul_lo_u32 v6, s1, v5
	v_mad_u64_u32 v[1:2], s[0:1], s0, v5, v[1:2]
	s_addc_u32 s19, s19, 0
	s_add_u32 s6, s6, 8
	v_add3_u32 v2, v6, v2, v4
	v_mov_b32_e32 v4, s10
	v_mov_b32_e32 v5, s11
	s_addc_u32 s7, s7, 0
	v_cmp_ge_u64_e32 vcc, s[18:19], v[4:5]
	s_add_u32 s16, s16, 8
	s_addc_u32 s17, s17, 0
	s_cbranch_vccnz .LBB0_9
; %bb.7:                                ;   in Loop: Header=BB0_2 Depth=1
	v_mov_b32_e32 v5, v7
	v_mov_b32_e32 v6, v8
	s_branch .LBB0_2
.LBB0_8:
	v_mov_b32_e32 v8, v6
	v_mov_b32_e32 v7, v5
.LBB0_9:
	s_lshl_b64 s[0:1], s[10:11], 3
	s_add_u32 s0, s2, s0
	s_addc_u32 s1, s3, s1
	s_load_dwordx2 s[2:3], s[0:1], 0x0
	s_load_dwordx2 s[6:7], s[4:5], 0x20
	v_and_b32_e32 v5, 1, v9
	v_mov_b32_e32 v6, 0xd2
	v_cmp_eq_u32_e32 vcc, 1, v5
	s_waitcnt lgkmcnt(0)
	v_mul_lo_u32 v3, s2, v8
	v_mul_lo_u32 v4, s3, v7
	v_mad_u64_u32 v[1:2], s[0:1], s2, v7, v[1:2]
	s_mov_b32 s0, 0x8888889
	v_cndmask_b32_e32 v17, 0, v6, vcc
	v_add3_u32 v2, v4, v2, v3
	v_mul_hi_u32 v3, v0, s0
	v_cmp_gt_u64_e32 vcc, s[6:7], v[7:8]
	v_lshlrev_b32_e32 v18, 2, v17
	v_mul_u32_u24_e32 v3, 30, v3
	v_sub_u32_e32 v12, v0, v3
	v_lshlrev_b64 v[0:1], 2, v[1:2]
	v_lshlrev_b32_e32 v2, 2, v12
	v_add_u32_e32 v14, 30, v12
	v_add_u32_e32 v13, 60, v12
	s_and_saveexec_b64 s[2:3], vcc
	s_cbranch_execz .LBB0_11
; %bb.10:
	v_mad_u64_u32 v[3:4], s[0:1], s12, v12, 0
	v_mov_b32_e32 v7, s15
	v_add_u32_e32 v11, 0x5a, v12
	v_mad_u64_u32 v[4:5], s[0:1], s13, v12, v[4:5]
	v_mad_u64_u32 v[5:6], s[0:1], s12, v14, 0
	v_add_co_u32_e64 v25, s[0:1], s14, v0
	v_addc_co_u32_e64 v26, s[0:1], v7, v1, s[0:1]
	v_mad_u64_u32 v[6:7], s[0:1], s13, v14, v[6:7]
	v_mad_u64_u32 v[7:8], s[0:1], s12, v13, 0
	v_lshlrev_b64 v[3:4], 2, v[3:4]
	v_lshlrev_b64 v[5:6], 2, v[5:6]
	v_add_co_u32_e64 v3, s[0:1], v25, v3
	v_addc_co_u32_e64 v4, s[0:1], v26, v4, s[0:1]
	v_mad_u64_u32 v[8:9], s[0:1], s13, v13, v[8:9]
	v_mad_u64_u32 v[9:10], s[0:1], s12, v11, 0
	v_add_co_u32_e64 v5, s[0:1], v25, v5
	v_add_u32_e32 v19, 0x78, v12
	v_addc_co_u32_e64 v6, s[0:1], v26, v6, s[0:1]
	v_mad_u64_u32 v[15:16], s[0:1], s12, v19, 0
	v_lshlrev_b64 v[7:8], 2, v[7:8]
	v_mad_u64_u32 v[10:11], s[0:1], s13, v11, v[10:11]
	v_add_co_u32_e64 v7, s[0:1], v25, v7
	v_mov_b32_e32 v11, v16
	v_addc_co_u32_e64 v8, s[0:1], v26, v8, s[0:1]
	v_mad_u64_u32 v[19:20], s[0:1], s13, v19, v[11:12]
	v_add_u32_e32 v22, 0x96, v12
	v_mad_u64_u32 v[20:21], s[0:1], s12, v22, 0
	v_lshlrev_b64 v[9:10], 2, v[9:10]
	v_add_u32_e32 v24, 0xb4, v12
	v_add_co_u32_e64 v9, s[0:1], v25, v9
	v_mov_b32_e32 v11, v21
	v_addc_co_u32_e64 v10, s[0:1], v26, v10, s[0:1]
	v_mad_u64_u32 v[21:22], s[0:1], s13, v22, v[11:12]
	v_mad_u64_u32 v[22:23], s[0:1], s12, v24, 0
	v_mov_b32_e32 v16, v19
	v_lshlrev_b64 v[15:16], 2, v[15:16]
	v_mov_b32_e32 v11, v23
	v_add_co_u32_e64 v15, s[0:1], v25, v15
	v_addc_co_u32_e64 v16, s[0:1], v26, v16, s[0:1]
	v_mad_u64_u32 v[23:24], s[0:1], s13, v24, v[11:12]
	v_lshlrev_b64 v[19:20], 2, v[20:21]
	v_add_co_u32_e64 v19, s[0:1], v25, v19
	v_lshlrev_b64 v[21:22], 2, v[22:23]
	v_addc_co_u32_e64 v20, s[0:1], v26, v20, s[0:1]
	v_add_co_u32_e64 v21, s[0:1], v25, v21
	v_addc_co_u32_e64 v22, s[0:1], v26, v22, s[0:1]
	global_load_dword v11, v[3:4], off
	global_load_dword v23, v[5:6], off
	;; [unrolled: 1-line block ×7, first 2 shown]
	v_add3_u32 v3, 0, v18, v2
	s_waitcnt vmcnt(5)
	ds_write2_b32 v3, v11, v23 offset1:30
	s_waitcnt vmcnt(3)
	ds_write2_b32 v3, v24, v25 offset0:60 offset1:90
	s_waitcnt vmcnt(1)
	ds_write2_b32 v3, v26, v27 offset0:120 offset1:150
	s_waitcnt vmcnt(0)
	ds_write_b32 v3, v28 offset:720
.LBB0_11:
	s_or_b64 exec, exec, s[2:3]
	v_add_u32_e32 v22, 0, v2
	v_add_u32_e32 v16, v22, v18
	s_waitcnt lgkmcnt(0)
	; wave barrier
	s_waitcnt lgkmcnt(0)
	v_add3_u32 v15, 0, v18, v2
	ds_read2_b32 v[4:5], v16 offset0:63 offset1:84
	ds_read_b32 v2, v16 offset:756
	ds_read2_b32 v[10:11], v16 offset0:21 offset1:42
	ds_read2_b32 v[8:9], v16 offset0:105 offset1:126
	;; [unrolled: 1-line block ×3, first 2 shown]
	ds_read_b32 v23, v15
	s_waitcnt lgkmcnt(4)
	v_pk_add_f16 v26, v4, v2 neg_lo:[0,1] neg_hi:[0,1]
	s_mov_b32 s4, 0xffff
	s_waitcnt lgkmcnt(2)
	v_pk_add_f16 v19, v8, v4 neg_lo:[0,1] neg_hi:[0,1]
	s_waitcnt lgkmcnt(1)
	v_pk_add_f16 v20, v6, v2 neg_lo:[0,1] neg_hi:[0,1]
	v_pk_add_f16 v19, v19, v20
	v_add_f16_e32 v3, v4, v2
	v_pk_add_f16 v25, v8, v6 neg_lo:[0,1] neg_hi:[0,1]
	v_bfi_b32 v27, s4, v19, v26
	s_mov_b32 s0, 0x38b434f2
	v_fma_f16 v3, v3, -0.5, v10
	v_lshrrev_b32_e32 v20, 16, v25
	s_movk_i32 s7, 0x3b9c
	v_pk_mul_f16 v27, v27, s0
	s_mov_b32 s0, 0xbb9c
	v_fma_f16 v21, v20, s7, v3
	v_fma_f16 v3, v20, s0, v3
	v_sub_f16_sdwa v21, v21, v27 dst_sel:DWORD dst_unused:UNUSED_PAD src0_sel:DWORD src1_sel:WORD_1
	v_add_f16_sdwa v3, v27, v3 dst_sel:DWORD dst_unused:UNUSED_PAD src0_sel:WORD_1 src1_sel:DWORD
	v_add_f16_e32 v21, v27, v21
	v_add_f16_e32 v3, v27, v3
	v_add_f16_sdwa v20, v4, v2 dst_sel:DWORD dst_unused:UNUSED_PAD src0_sel:WORD_1 src1_sel:WORD_1
	v_lshrrev_b32_e32 v27, 16, v10
	v_fma_f16 v20, v20, -0.5, v27
	v_fma_f16 v27, v25, s0, v20
	s_movk_i32 s5, 0x38b4
	v_fma_f16 v20, v25, s7, v20
	s_mov_b32 s0, 0xb8b4
	v_fma_f16 v27, v26, s5, v27
	v_lshrrev_b32_e32 v19, 16, v19
	s_movk_i32 s6, 0x34f2
	v_fma_f16 v20, v26, s0, v20
	v_fma_f16 v31, v19, s6, v27
	;; [unrolled: 1-line block ×3, first 2 shown]
	v_pk_add_f16 v20, v5, v11 neg_lo:[0,1] neg_hi:[0,1]
	v_pk_add_f16 v27, v9, v7 neg_lo:[0,1] neg_hi:[0,1]
	;; [unrolled: 1-line block ×3, first 2 shown]
	v_pk_add_f16 v20, v20, v27
	v_pk_add_f16 v27, v11, v7
	s_waitcnt lgkmcnt(0)
	v_pk_fma_f16 v27, v27, -0.5, v23 op_sel_hi:[1,0,1]
	v_pk_mul_f16 v28, v24, s7 op_sel_hi:[1,0]
	v_pk_add_f16 v29, v11, v7 neg_lo:[0,1] neg_hi:[0,1]
	v_pk_add_f16 v30, v27, v28 op_sel:[0,1] op_sel_hi:[1,0] neg_lo:[0,1] neg_hi:[0,1]
	v_pk_add_f16 v27, v27, v28 op_sel:[0,1] op_sel_hi:[1,0]
	v_pk_mul_f16 v28, v29, s5 op_sel_hi:[1,0]
	v_pk_add_f16 v30, v28, v30 op_sel:[1,0] op_sel_hi:[0,1]
	v_pk_add_f16 v32, v27, v28 op_sel:[0,1] op_sel_hi:[1,0] neg_lo:[0,1] neg_hi:[0,1]
	v_bfi_b32 v27, s4, v32, v30
	v_pk_fma_f16 v27, v20, s6, v27 op_sel_hi:[1,0,1]
	v_pk_mul_f16 v20, v20, s6 op_sel_hi:[1,0]
	s_mov_b32 s1, 0x34f23b9c
	v_add_f16_e32 v28, v20, v30
	v_add_f16_sdwa v30, v20, v32 dst_sel:DWORD dst_unused:UNUSED_PAD src0_sel:WORD_1 src1_sel:WORD_1
	s_mov_b32 s0, 0x3b9c34f2
	v_pk_mul_f16 v20, v31, s1 op_sel_hi:[0,1]
	v_pk_fma_f16 v31, v21, s0, v20 neg_lo:[0,0,1] neg_hi:[0,0,1]
	v_pk_fma_f16 v20, v21, s0, v20 op_sel_hi:[0,1,1]
	v_bfi_b32 v31, s4, v31, v20
	s_mov_b32 s0, 0xb4f2
	v_mul_f16_e32 v20, 0xbb9c, v19
	v_mul_f16_e32 v19, 0xb4f2, v19
	v_fma_f16 v32, v3, s0, v20
	v_fma_f16 v33, v3, s7, v19
	v_pk_add_f16 v3, v27, v31 neg_lo:[0,1] neg_hi:[0,1]
	v_cmp_gt_u32_e64 s[0:1], 21, v12
	v_sub_f16_e32 v19, v28, v32
	v_lshrrev_b32_e32 v20, 16, v3
	v_sub_f16_e32 v21, v30, v33
	s_waitcnt lgkmcnt(0)
	; wave barrier
	s_and_saveexec_b64 s[2:3], s[0:1]
	s_cbranch_execz .LBB0_13
; %bb.12:
	v_pk_add_f16 v34, v23, v11
	v_add_f16_e32 v28, v28, v32
	v_pk_add_f16 v32, v34, v5
	v_pk_add_f16 v35, v10, v4
	;; [unrolled: 1-line block ×3, first 2 shown]
	v_add_f16_e32 v30, v30, v33
	v_pk_add_f16 v32, v32, v7
	v_pk_add_f16 v33, v35, v8
	;; [unrolled: 1-line block ×3, first 2 shown]
	v_pk_add_f16 v5, v11, v5 neg_lo:[0,1] neg_hi:[0,1]
	v_pk_add_f16 v7, v7, v9 neg_lo:[0,1] neg_hi:[0,1]
	v_pk_add_f16 v33, v33, v6
	v_pk_add_f16 v5, v5, v7
	;; [unrolled: 1-line block ×3, first 2 shown]
	v_pk_mul_f16 v26, v26, s7 op_sel_hi:[1,0]
	v_pk_add_f16 v33, v33, v2
	v_pk_fma_f16 v7, v7, 0.5, v10 op_sel_hi:[1,0,1] neg_lo:[1,0,0] neg_hi:[1,0,0]
	v_pk_add_f16 v4, v4, v8 neg_lo:[0,1] neg_hi:[0,1]
	v_pk_add_f16 v2, v2, v6 neg_lo:[0,1] neg_hi:[0,1]
	v_pk_mul_f16 v25, v25, s5 op_sel_hi:[1,0]
	v_pk_add_f16 v8, v7, v26 op_sel:[0,1] op_sel_hi:[1,0]
	v_pk_add_f16 v2, v4, v2
	v_pk_add_f16 v7, v7, v26 op_sel:[0,1] op_sel_hi:[1,0] neg_lo:[0,1] neg_hi:[0,1]
	v_pk_add_f16 v8, v25, v8 op_sel:[1,0] op_sel_hi:[0,1]
	v_pk_mul_f16 v4, v2, s6 op_sel_hi:[1,0]
	v_pk_add_f16 v7, v7, v25 op_sel:[0,1] op_sel_hi:[1,0] neg_lo:[0,1] neg_hi:[0,1]
	v_pk_mul_f16 v29, v29, s7 op_sel_hi:[1,0]
	v_pk_fma_f16 v23, v35, 0.5, v23 op_sel_hi:[1,0,1] neg_lo:[1,0,0] neg_hi:[1,0,0]
	v_add_f16_e32 v6, v4, v8
	v_add_f16_sdwa v4, v4, v7 dst_sel:DWORD dst_unused:UNUSED_PAD src0_sel:WORD_1 src1_sel:WORD_1
	v_bfi_b32 v7, s4, v7, v8
	v_pk_mul_f16 v24, v24, s5 op_sel_hi:[1,0]
	v_pk_add_f16 v35, v23, v29 op_sel:[0,1] op_sel_hi:[1,0] neg_lo:[0,1] neg_hi:[0,1]
	v_pk_fma_f16 v2, v2, s6, v7 op_sel_hi:[1,0,1]
	v_pk_add_f16 v7, v23, v29 op_sel:[0,1] op_sel_hi:[1,0]
	v_pk_add_f16 v35, v35, v24 op_sel:[0,1] op_sel_hi:[1,0] neg_lo:[0,1] neg_hi:[0,1]
	v_pk_add_f16 v7, v24, v7 op_sel:[1,0] op_sel_hi:[0,1]
	v_bfi_b32 v8, s4, v35, v7
	v_pk_mul_f16 v9, v5, s6 op_sel_hi:[1,0]
	v_pk_fma_f16 v5, v5, s6, v8 op_sel_hi:[1,0,1]
	v_pk_mul_f16 v8, v2, s5 op_sel_hi:[1,0]
	s_movk_i32 s1, 0x3a79
	s_mov_b32 s0, 0xba79
	v_mul_f16_e32 v11, 0xba79, v4
	v_pk_fma_f16 v23, v2, s1, v8 op_sel:[0,0,1] op_sel_hi:[1,0,0] neg_lo:[0,0,1] neg_hi:[0,0,1]
	v_pk_fma_f16 v2, v2, s1, v8 op_sel:[0,0,1] op_sel_hi:[1,0,0]
	v_mul_f16_e32 v4, 0x38b4, v4
	v_pk_add_f16 v27, v27, v31
	v_mul_u32_u24_e32 v31, 36, v12
	v_bfi_b32 v2, s4, v23, v2
	v_add_f16_e32 v7, v9, v7
	v_fma_f16 v4, v6, s0, -v4
	v_add3_u32 v31, v22, v31, v18
	v_pk_add_f16 v34, v32, v33
	v_add_f16_sdwa v10, v9, v35 dst_sel:DWORD dst_unused:UNUSED_PAD src0_sel:WORD_1 src1_sel:WORD_1
	v_fma_f16 v11, v6, s5, v11
	v_sub_f16_e32 v6, v7, v4
	v_add_f16_e32 v4, v7, v4
	v_pk_add_f16 v7, v5, v2
	v_add_f16_e32 v8, v10, v11
	ds_write2_b32 v31, v34, v7 offset1:1
	v_pack_b32_f16 v7, v28, v30
	ds_write2_b32 v31, v27, v7 offset0:2 offset1:3
	v_pk_add_f16 v7, v32, v33 neg_lo:[0,1] neg_hi:[0,1]
	v_pack_b32_f16 v4, v4, v8
	s_mov_b32 s0, 0x5040100
	v_sub_f16_e32 v25, v10, v11
	ds_write2_b32 v31, v4, v7 offset0:4 offset1:5
	v_pk_add_f16 v2, v5, v2 neg_lo:[0,1] neg_hi:[0,1]
	v_perm_b32 v4, v20, v3, s0
	ds_write2_b32 v31, v2, v4 offset0:6 offset1:7
	v_pack_b32_f16 v2, v6, v25
	v_perm_b32 v4, v21, v19, s0
	ds_write2_b32 v31, v4, v2 offset0:8 offset1:9
.LBB0_13:
	s_or_b64 exec, exec, s[2:3]
	s_movk_i32 s0, 0xcd
	v_mul_lo_u16_sdwa v2, v12, s0 dst_sel:DWORD dst_unused:UNUSED_PAD src0_sel:BYTE_0 src1_sel:DWORD
	v_lshrrev_b16_e32 v27, 11, v2
	v_mul_lo_u16_e32 v2, 10, v27
	v_sub_u16_e32 v28, v12, v2
	v_mov_b32_e32 v2, 6
	v_mul_u32_u24_sdwa v2, v28, v2 dst_sel:DWORD dst_unused:UNUSED_PAD src0_sel:BYTE_0 src1_sel:DWORD
	v_lshlrev_b32_e32 v2, 2, v2
	s_waitcnt lgkmcnt(0)
	; wave barrier
	s_waitcnt lgkmcnt(0)
	global_load_dwordx4 v[4:7], v2, s[8:9]
	global_load_dwordx2 v[8:9], v2, s[8:9] offset:16
	ds_read2_b32 v[10:11], v16 offset0:30 offset1:60
	ds_read2_b32 v[23:24], v16 offset0:90 offset1:120
	ds_read_b32 v2, v15
	ds_read2_b32 v[25:26], v16 offset0:150 offset1:180
	s_movk_i32 s0, 0x2b26
	s_waitcnt lgkmcnt(3)
	v_lshrrev_b32_e32 v29, 16, v10
	v_lshrrev_b32_e32 v30, 16, v11
	s_waitcnt lgkmcnt(2)
	v_lshrrev_b32_e32 v31, 16, v23
	v_lshrrev_b32_e32 v32, 16, v24
	;; [unrolled: 3-line block ×3, first 2 shown]
	s_movk_i32 s3, 0x39e0
	s_mov_b32 s4, 0xb9e0
	s_mov_b32 s2, 0xbcab
	;; [unrolled: 1-line block ×3, first 2 shown]
	s_waitcnt lgkmcnt(0)
	; wave barrier
	s_waitcnt vmcnt(1)
	v_mul_f16_sdwa v35, v4, v29 dst_sel:DWORD dst_unused:UNUSED_PAD src0_sel:WORD_1 src1_sel:DWORD
	v_mul_f16_sdwa v37, v5, v30 dst_sel:DWORD dst_unused:UNUSED_PAD src0_sel:WORD_1 src1_sel:DWORD
	;; [unrolled: 1-line block ×7, first 2 shown]
	s_waitcnt vmcnt(0)
	v_mul_f16_sdwa v43, v8, v33 dst_sel:DWORD dst_unused:UNUSED_PAD src0_sel:WORD_1 src1_sel:DWORD
	v_fma_f16 v10, v4, v10, v35
	v_fma_f16 v11, v5, v11, v37
	v_mul_f16_sdwa v35, v8, v25 dst_sel:DWORD dst_unused:UNUSED_PAD src0_sel:WORD_1 src1_sel:DWORD
	v_mul_f16_sdwa v37, v9, v34 dst_sel:DWORD dst_unused:UNUSED_PAD src0_sel:WORD_1 src1_sel:DWORD
	v_fma_f16 v23, v6, v23, v39
	v_mul_f16_sdwa v39, v9, v26 dst_sel:DWORD dst_unused:UNUSED_PAD src0_sel:WORD_1 src1_sel:DWORD
	v_mul_f16_sdwa v42, v7, v24 dst_sel:DWORD dst_unused:UNUSED_PAD src0_sel:WORD_1 src1_sel:DWORD
	v_fma_f16 v24, v7, v24, v41
	v_fma_f16 v4, v4, v29, -v36
	v_fma_f16 v5, v5, v30, -v38
	v_fma_f16 v25, v8, v25, v43
	v_fma_f16 v8, v8, v33, -v35
	v_fma_f16 v26, v9, v26, v37
	v_fma_f16 v9, v9, v34, -v39
	v_fma_f16 v6, v6, v31, -v40
	;; [unrolled: 1-line block ×3, first 2 shown]
	v_add_f16_e32 v29, v10, v26
	v_add_f16_e32 v30, v4, v9
	v_sub_f16_e32 v10, v10, v26
	v_sub_f16_e32 v4, v4, v9
	v_add_f16_e32 v9, v11, v25
	v_add_f16_e32 v26, v5, v8
	v_sub_f16_e32 v5, v5, v8
	v_add_f16_e32 v8, v23, v24
	v_sub_f16_e32 v11, v11, v25
	v_add_f16_e32 v25, v6, v7
	v_sub_f16_e32 v23, v24, v23
	v_sub_f16_e32 v6, v7, v6
	v_add_f16_e32 v7, v9, v29
	v_add_f16_e32 v24, v26, v30
	v_sub_f16_e32 v31, v9, v29
	v_sub_f16_e32 v29, v29, v8
	;; [unrolled: 1-line block ×5, first 2 shown]
	v_add_f16_e32 v7, v8, v7
	v_add_f16_e32 v8, v25, v24
	v_mul_f16_e32 v24, 0x3a52, v29
	v_mul_f16_e32 v29, 0x2b26, v9
	v_sub_f16_e32 v26, v25, v26
	v_add_f16_e32 v33, v23, v11
	v_add_f16_e32 v34, v6, v5
	v_sub_f16_e32 v35, v23, v11
	v_sub_f16_e32 v36, v6, v5
	v_mul_f16_e32 v25, 0x3a52, v30
	v_fma_f16 v9, v9, s0, v24
	v_fma_f16 v29, v31, s3, -v29
	v_fma_f16 v24, v31, s4, -v24
	v_add_f16_e32 v31, v7, v2
	v_add_f16_sdwa v37, v8, v2 dst_sel:DWORD dst_unused:UNUSED_PAD src0_sel:DWORD src1_sel:WORD_1
	v_sub_f16_e32 v23, v10, v23
	v_sub_f16_e32 v6, v4, v6
	;; [unrolled: 1-line block ×4, first 2 shown]
	v_add_f16_e32 v10, v33, v10
	v_add_f16_e32 v4, v34, v4
	v_mul_f16_e32 v30, 0x2b26, v26
	v_mul_f16_e32 v33, 0x3846, v35
	v_mul_f16_e32 v34, 0x3846, v36
	v_fma_f16 v2, v7, s2, v31
	v_fma_f16 v7, v8, s2, v37
	;; [unrolled: 1-line block ×3, first 2 shown]
	s_mov_b32 s0, 0xb574
	v_mul_f16_e32 v35, 0xbb00, v11
	v_mul_f16_e32 v36, 0xbb00, v5
	v_fma_f16 v26, v32, s3, -v30
	v_fma_f16 v25, v32, s4, -v25
	v_fma_f16 v30, v23, s0, v33
	v_fma_f16 v32, v6, s0, v34
	s_movk_i32 s0, 0x3574
	v_fma_f16 v5, v5, s1, -v34
	v_fma_f16 v23, v23, s0, -v35
	;; [unrolled: 1-line block ×3, first 2 shown]
	s_mov_b32 s0, 0xb70e
	v_fma_f16 v11, v11, s1, -v33
	v_add_f16_e32 v9, v9, v2
	v_add_f16_e32 v8, v8, v7
	;; [unrolled: 1-line block ×6, first 2 shown]
	v_fma_f16 v25, v4, s0, v32
	v_fma_f16 v5, v4, s0, v5
	;; [unrolled: 1-line block ×6, first 2 shown]
	v_add_f16_e32 v6, v25, v9
	v_add_f16_e32 v30, v4, v2
	v_sub_f16_e32 v4, v2, v4
	v_sub_f16_e32 v2, v9, v25
	s_movk_i32 s0, 0x118
	v_mov_b32_e32 v9, 2
	v_sub_f16_e32 v23, v8, v24
	v_sub_f16_e32 v32, v7, v10
	;; [unrolled: 1-line block ×3, first 2 shown]
	v_add_f16_e32 v34, v11, v26
	v_add_f16_e32 v5, v5, v29
	v_sub_f16_e32 v11, v26, v11
	v_add_f16_e32 v7, v10, v7
	v_add_f16_e32 v10, v24, v8
	v_mad_u32_u24 v8, v27, s0, 0
	v_lshlrev_b32_sdwa v9, v9, v28 dst_sel:DWORD dst_unused:UNUSED_PAD src0_sel:DWORD src1_sel:BYTE_0
	v_add3_u32 v8, v8, v9, v18
	v_pack_b32_f16 v9, v31, v37
	v_pack_b32_f16 v6, v6, v23
	;; [unrolled: 1-line block ×4, first 2 shown]
	ds_write2_b32 v8, v9, v6 offset1:10
	v_pack_b32_f16 v6, v30, v32
	v_pack_b32_f16 v9, v33, v34
	ds_write2_b32 v8, v5, v4 offset0:40 offset1:50
	v_pack_b32_f16 v4, v2, v10
	ds_write2_b32 v8, v6, v9 offset0:20 offset1:30
	ds_write_b32 v8, v4 offset:240
	s_waitcnt lgkmcnt(0)
	; wave barrier
	s_waitcnt lgkmcnt(0)
	ds_read2_b32 v[4:5], v16 offset0:30 offset1:70
	ds_read2_b32 v[8:9], v16 offset0:100 offset1:140
	ds_read_b32 v11, v15
	ds_read_b32 v18, v16 offset:680
	v_cmp_gt_u32_e64 s[0:1], 10, v12
	s_and_saveexec_b64 s[2:3], s[0:1]
	s_cbranch_execz .LBB0_15
; %bb.14:
	ds_read2_b32 v[2:3], v16 offset0:60 offset1:130
	ds_read_b32 v19, v16 offset:800
	s_waitcnt lgkmcnt(1)
	v_lshrrev_b32_e32 v10, 16, v2
	v_lshrrev_b32_e32 v20, 16, v3
	s_waitcnt lgkmcnt(0)
	v_lshrrev_b32_e32 v21, 16, v19
.LBB0_15:
	s_or_b64 exec, exec, s[2:3]
	v_lshlrev_b32_e32 v6, 1, v12
	v_mov_b32_e32 v7, 0
	v_lshlrev_b64 v[23:24], 2, v[6:7]
	v_lshlrev_b32_e32 v6, 1, v14
	v_mov_b32_e32 v27, s9
	v_add_co_u32_e64 v23, s[2:3], s8, v23
	v_lshlrev_b64 v[25:26], 2, v[6:7]
	v_addc_co_u32_e64 v24, s[2:3], v27, v24, s[2:3]
	v_add_co_u32_e64 v25, s[2:3], s8, v25
	global_load_dwordx2 v[23:24], v[23:24], off offset:240
	v_addc_co_u32_e64 v26, s[2:3], v27, v26, s[2:3]
	global_load_dwordx2 v[25:26], v[25:26], off offset:240
	s_waitcnt lgkmcnt(2)
	v_lshrrev_b32_e32 v29, 16, v9
	v_lshrrev_b32_e32 v30, 16, v5
	s_waitcnt lgkmcnt(0)
	v_lshrrev_b32_e32 v27, 16, v18
	v_lshrrev_b32_e32 v28, 16, v8
	v_lshl_add_u32 v6, v17, 2, v22
	v_lshrrev_b32_e32 v22, 16, v11
	v_lshrrev_b32_e32 v17, 16, v4
	s_mov_b32 s4, 0xbaee
	s_movk_i32 s5, 0x3aee
	s_waitcnt lgkmcnt(0)
	; wave barrier
	s_waitcnt vmcnt(1)
	v_mul_f16_sdwa v31, v23, v30 dst_sel:DWORD dst_unused:UNUSED_PAD src0_sel:WORD_1 src1_sel:DWORD
	v_mul_f16_sdwa v32, v23, v5 dst_sel:DWORD dst_unused:UNUSED_PAD src0_sel:WORD_1 src1_sel:DWORD
	;; [unrolled: 1-line block ×4, first 2 shown]
	v_fma_f16 v5, v23, v5, v31
	v_fma_f16 v23, v23, v30, -v32
	v_fma_f16 v9, v24, v9, v33
	v_fma_f16 v24, v24, v29, -v34
	s_waitcnt vmcnt(0)
	v_mul_f16_sdwa v29, v25, v28 dst_sel:DWORD dst_unused:UNUSED_PAD src0_sel:WORD_1 src1_sel:DWORD
	v_mul_f16_sdwa v30, v25, v8 dst_sel:DWORD dst_unused:UNUSED_PAD src0_sel:WORD_1 src1_sel:DWORD
	;; [unrolled: 1-line block ×4, first 2 shown]
	v_fma_f16 v8, v25, v8, v29
	v_fma_f16 v25, v25, v28, -v30
	v_fma_f16 v18, v26, v18, v31
	v_fma_f16 v26, v26, v27, -v32
	v_add_f16_e32 v27, v5, v11
	v_add_f16_e32 v28, v5, v9
	v_sub_f16_e32 v29, v23, v24
	v_add_f16_e32 v30, v23, v22
	v_add_f16_e32 v23, v23, v24
	v_sub_f16_e32 v5, v5, v9
	v_add_f16_e32 v9, v27, v9
	v_fma_f16 v11, v28, -0.5, v11
	v_add_f16_e32 v24, v30, v24
	v_fma_f16 v22, v23, -0.5, v22
	v_add_f16_e32 v27, v8, v18
	v_sub_f16_e32 v28, v25, v26
	v_add_f16_e32 v30, v17, v25
	v_add_f16_e32 v25, v25, v26
	v_add_f16_e32 v23, v4, v8
	v_sub_f16_e32 v8, v8, v18
	v_fma_f16 v31, v29, s4, v11
	v_fma_f16 v11, v29, s5, v11
	;; [unrolled: 1-line block ×4, first 2 shown]
	v_fma_f16 v4, v27, -0.5, v4
	v_fma_f16 v17, v25, -0.5, v17
	v_add_f16_e32 v18, v23, v18
	v_add_f16_e32 v22, v30, v26
	v_pack_b32_f16 v9, v9, v24
	v_fma_f16 v23, v28, s4, v4
	v_fma_f16 v4, v28, s5, v4
	;; [unrolled: 1-line block ×4, first 2 shown]
	v_pack_b32_f16 v17, v31, v29
	v_pack_b32_f16 v5, v11, v5
	;; [unrolled: 1-line block ×3, first 2 shown]
	ds_write2_b32 v16, v17, v5 offset0:70 offset1:140
	ds_write2_b32 v16, v9, v11 offset1:30
	v_pack_b32_f16 v5, v23, v24
	v_pack_b32_f16 v4, v4, v8
	ds_write2_b32 v6, v5, v4 offset0:100 offset1:170
	s_and_saveexec_b64 s[2:3], s[0:1]
	s_cbranch_execz .LBB0_17
; %bb.16:
	v_add_u32_e32 v4, -10, v12
	v_cndmask_b32_e64 v4, v4, v13, s[0:1]
	v_lshlrev_b32_e32 v6, 1, v4
	v_lshlrev_b64 v[4:5], 2, v[6:7]
	v_mov_b32_e32 v6, s9
	v_add_co_u32_e64 v4, s[0:1], s8, v4
	v_addc_co_u32_e64 v5, s[0:1], v6, v5, s[0:1]
	global_load_dwordx2 v[4:5], v[4:5], off offset:240
	s_waitcnt vmcnt(0)
	v_mul_f16_sdwa v6, v3, v4 dst_sel:DWORD dst_unused:UNUSED_PAD src0_sel:DWORD src1_sel:WORD_1
	v_mul_f16_sdwa v7, v19, v5 dst_sel:DWORD dst_unused:UNUSED_PAD src0_sel:DWORD src1_sel:WORD_1
	;; [unrolled: 1-line block ×4, first 2 shown]
	v_fma_f16 v6, v20, v4, -v6
	v_fma_f16 v7, v21, v5, -v7
	v_fma_f16 v3, v3, v4, v8
	v_fma_f16 v4, v19, v5, v9
	v_add_f16_e32 v5, v6, v7
	v_add_f16_e32 v11, v3, v4
	v_sub_f16_e32 v8, v3, v4
	v_add_f16_e32 v9, v10, v6
	v_sub_f16_e32 v6, v6, v7
	v_add_f16_e32 v3, v2, v3
	v_fma_f16 v5, v5, -0.5, v10
	v_fma_f16 v2, v11, -0.5, v2
	v_add_f16_e32 v7, v9, v7
	v_add_f16_e32 v3, v3, v4
	v_fma_f16 v4, v8, s4, v5
	v_fma_f16 v5, v8, s5, v5
	;; [unrolled: 1-line block ×4, first 2 shown]
	v_pack_b32_f16 v3, v3, v7
	v_pack_b32_f16 v2, v2, v5
	v_pack_b32_f16 v4, v8, v4
	ds_write2_b32 v16, v3, v2 offset0:60 offset1:130
	ds_write_b32 v16, v4 offset:800
.LBB0_17:
	s_or_b64 exec, exec, s[2:3]
	s_waitcnt lgkmcnt(0)
	; wave barrier
	s_waitcnt lgkmcnt(0)
	s_and_saveexec_b64 s[0:1], vcc
	s_cbranch_execz .LBB0_19
; %bb.18:
	v_mad_u64_u32 v[2:3], s[0:1], s12, v12, 0
	v_mov_b32_e32 v6, s15
	v_add_co_u32_e32 v9, vcc, s14, v0
	v_mad_u64_u32 v[3:4], s[0:1], s13, v12, v[3:4]
	ds_read2_b32 v[4:5], v15 offset1:30
	v_addc_co_u32_e32 v10, vcc, v6, v1, vcc
	v_lshlrev_b64 v[0:1], 2, v[2:3]
	v_mad_u64_u32 v[2:3], s[0:1], s12, v14, 0
	v_add_co_u32_e32 v0, vcc, v9, v0
	s_waitcnt lgkmcnt(0)
	v_mad_u64_u32 v[6:7], s[0:1], s13, v14, v[3:4]
	v_mad_u64_u32 v[7:8], s[0:1], s12, v13, 0
	v_addc_co_u32_e32 v1, vcc, v10, v1, vcc
	v_mov_b32_e32 v3, v6
	global_store_dword v[0:1], v4, off
	v_lshlrev_b64 v[0:1], 2, v[2:3]
	v_mov_b32_e32 v2, v8
	v_add_co_u32_e32 v0, vcc, v9, v0
	v_mad_u64_u32 v[2:3], s[0:1], s13, v13, v[2:3]
	v_addc_co_u32_e32 v1, vcc, v10, v1, vcc
	v_add_u32_e32 v6, 0x5a, v12
	global_store_dword v[0:1], v5, off
	v_mad_u64_u32 v[4:5], s[0:1], s12, v6, 0
	v_mov_b32_e32 v8, v2
	ds_read2_b32 v[0:1], v15 offset0:60 offset1:90
	v_lshlrev_b64 v[2:3], 2, v[7:8]
	v_mad_u64_u32 v[5:6], s[0:1], s13, v6, v[5:6]
	v_add_u32_e32 v8, 0x78, v12
	v_mad_u64_u32 v[6:7], s[0:1], s12, v8, 0
	v_add_co_u32_e32 v2, vcc, v9, v2
	v_addc_co_u32_e32 v3, vcc, v10, v3, vcc
	s_waitcnt lgkmcnt(0)
	global_store_dword v[2:3], v0, off
	v_mov_b32_e32 v0, v7
	v_lshlrev_b64 v[2:3], 2, v[4:5]
	v_mad_u64_u32 v[4:5], s[0:1], s13, v8, v[0:1]
	v_add_co_u32_e32 v2, vcc, v9, v2
	v_addc_co_u32_e32 v3, vcc, v10, v3, vcc
	v_mov_b32_e32 v7, v4
	global_store_dword v[2:3], v1, off
	v_lshlrev_b64 v[2:3], 2, v[6:7]
	v_add_u32_e32 v6, 0x96, v12
	v_mad_u64_u32 v[4:5], s[0:1], s12, v6, 0
	ds_read2_b32 v[0:1], v15 offset0:120 offset1:150
	v_add_u32_e32 v8, 0xb4, v12
	v_mad_u64_u32 v[5:6], s[0:1], s13, v6, v[5:6]
	v_mad_u64_u32 v[6:7], s[0:1], s12, v8, 0
	v_add_co_u32_e32 v2, vcc, v9, v2
	v_addc_co_u32_e32 v3, vcc, v10, v3, vcc
	s_waitcnt lgkmcnt(0)
	global_store_dword v[2:3], v0, off
	v_mov_b32_e32 v0, v7
	v_lshlrev_b64 v[2:3], 2, v[4:5]
	v_mad_u64_u32 v[4:5], s[0:1], s13, v8, v[0:1]
	v_add_co_u32_e32 v2, vcc, v9, v2
	v_addc_co_u32_e32 v3, vcc, v10, v3, vcc
	global_store_dword v[2:3], v1, off
	v_mov_b32_e32 v7, v4
	ds_read_b32 v2, v15 offset:720
	v_lshlrev_b64 v[0:1], 2, v[6:7]
	v_add_co_u32_e32 v0, vcc, v9, v0
	v_addc_co_u32_e32 v1, vcc, v10, v1, vcc
	s_waitcnt lgkmcnt(0)
	global_store_dword v[0:1], v2, off
.LBB0_19:
	s_endpgm
	.section	.rodata,"a",@progbits
	.p2align	6, 0x0
	.amdhsa_kernel fft_rtc_back_len210_factors_10_7_3_wgs_60_tpt_30_half_ip_CI_sbrr_dirReg
		.amdhsa_group_segment_fixed_size 0
		.amdhsa_private_segment_fixed_size 0
		.amdhsa_kernarg_size 88
		.amdhsa_user_sgpr_count 6
		.amdhsa_user_sgpr_private_segment_buffer 1
		.amdhsa_user_sgpr_dispatch_ptr 0
		.amdhsa_user_sgpr_queue_ptr 0
		.amdhsa_user_sgpr_kernarg_segment_ptr 1
		.amdhsa_user_sgpr_dispatch_id 0
		.amdhsa_user_sgpr_flat_scratch_init 0
		.amdhsa_user_sgpr_private_segment_size 0
		.amdhsa_uses_dynamic_stack 0
		.amdhsa_system_sgpr_private_segment_wavefront_offset 0
		.amdhsa_system_sgpr_workgroup_id_x 1
		.amdhsa_system_sgpr_workgroup_id_y 0
		.amdhsa_system_sgpr_workgroup_id_z 0
		.amdhsa_system_sgpr_workgroup_info 0
		.amdhsa_system_vgpr_workitem_id 0
		.amdhsa_next_free_vgpr 44
		.amdhsa_next_free_sgpr 24
		.amdhsa_reserve_vcc 1
		.amdhsa_reserve_flat_scratch 0
		.amdhsa_float_round_mode_32 0
		.amdhsa_float_round_mode_16_64 0
		.amdhsa_float_denorm_mode_32 3
		.amdhsa_float_denorm_mode_16_64 3
		.amdhsa_dx10_clamp 1
		.amdhsa_ieee_mode 1
		.amdhsa_fp16_overflow 0
		.amdhsa_exception_fp_ieee_invalid_op 0
		.amdhsa_exception_fp_denorm_src 0
		.amdhsa_exception_fp_ieee_div_zero 0
		.amdhsa_exception_fp_ieee_overflow 0
		.amdhsa_exception_fp_ieee_underflow 0
		.amdhsa_exception_fp_ieee_inexact 0
		.amdhsa_exception_int_div_zero 0
	.end_amdhsa_kernel
	.text
.Lfunc_end0:
	.size	fft_rtc_back_len210_factors_10_7_3_wgs_60_tpt_30_half_ip_CI_sbrr_dirReg, .Lfunc_end0-fft_rtc_back_len210_factors_10_7_3_wgs_60_tpt_30_half_ip_CI_sbrr_dirReg
                                        ; -- End function
	.section	.AMDGPU.csdata,"",@progbits
; Kernel info:
; codeLenInByte = 4988
; NumSgprs: 28
; NumVgprs: 44
; ScratchSize: 0
; MemoryBound: 0
; FloatMode: 240
; IeeeMode: 1
; LDSByteSize: 0 bytes/workgroup (compile time only)
; SGPRBlocks: 3
; VGPRBlocks: 10
; NumSGPRsForWavesPerEU: 28
; NumVGPRsForWavesPerEU: 44
; Occupancy: 5
; WaveLimiterHint : 1
; COMPUTE_PGM_RSRC2:SCRATCH_EN: 0
; COMPUTE_PGM_RSRC2:USER_SGPR: 6
; COMPUTE_PGM_RSRC2:TRAP_HANDLER: 0
; COMPUTE_PGM_RSRC2:TGID_X_EN: 1
; COMPUTE_PGM_RSRC2:TGID_Y_EN: 0
; COMPUTE_PGM_RSRC2:TGID_Z_EN: 0
; COMPUTE_PGM_RSRC2:TIDIG_COMP_CNT: 0
	.type	__hip_cuid_5b1d25d9c821ca76,@object ; @__hip_cuid_5b1d25d9c821ca76
	.section	.bss,"aw",@nobits
	.globl	__hip_cuid_5b1d25d9c821ca76
__hip_cuid_5b1d25d9c821ca76:
	.byte	0                               ; 0x0
	.size	__hip_cuid_5b1d25d9c821ca76, 1

	.ident	"AMD clang version 19.0.0git (https://github.com/RadeonOpenCompute/llvm-project roc-6.4.0 25133 c7fe45cf4b819c5991fe208aaa96edf142730f1d)"
	.section	".note.GNU-stack","",@progbits
	.addrsig
	.addrsig_sym __hip_cuid_5b1d25d9c821ca76
	.amdgpu_metadata
---
amdhsa.kernels:
  - .args:
      - .actual_access:  read_only
        .address_space:  global
        .offset:         0
        .size:           8
        .value_kind:     global_buffer
      - .offset:         8
        .size:           8
        .value_kind:     by_value
      - .actual_access:  read_only
        .address_space:  global
        .offset:         16
        .size:           8
        .value_kind:     global_buffer
      - .actual_access:  read_only
        .address_space:  global
        .offset:         24
        .size:           8
        .value_kind:     global_buffer
      - .offset:         32
        .size:           8
        .value_kind:     by_value
      - .actual_access:  read_only
        .address_space:  global
        .offset:         40
        .size:           8
        .value_kind:     global_buffer
      - .actual_access:  read_only
        .address_space:  global
        .offset:         48
        .size:           8
        .value_kind:     global_buffer
      - .offset:         56
        .size:           4
        .value_kind:     by_value
      - .actual_access:  read_only
        .address_space:  global
        .offset:         64
        .size:           8
        .value_kind:     global_buffer
      - .actual_access:  read_only
        .address_space:  global
        .offset:         72
        .size:           8
        .value_kind:     global_buffer
      - .address_space:  global
        .offset:         80
        .size:           8
        .value_kind:     global_buffer
    .group_segment_fixed_size: 0
    .kernarg_segment_align: 8
    .kernarg_segment_size: 88
    .language:       OpenCL C
    .language_version:
      - 2
      - 0
    .max_flat_workgroup_size: 60
    .name:           fft_rtc_back_len210_factors_10_7_3_wgs_60_tpt_30_half_ip_CI_sbrr_dirReg
    .private_segment_fixed_size: 0
    .sgpr_count:     28
    .sgpr_spill_count: 0
    .symbol:         fft_rtc_back_len210_factors_10_7_3_wgs_60_tpt_30_half_ip_CI_sbrr_dirReg.kd
    .uniform_work_group_size: 1
    .uses_dynamic_stack: false
    .vgpr_count:     44
    .vgpr_spill_count: 0
    .wavefront_size: 64
amdhsa.target:   amdgcn-amd-amdhsa--gfx906
amdhsa.version:
  - 1
  - 2
...

	.end_amdgpu_metadata
